;; amdgpu-corpus repo=ROCm/rocFFT kind=compiled arch=gfx906 opt=O3
	.text
	.amdgcn_target "amdgcn-amd-amdhsa--gfx906"
	.amdhsa_code_object_version 6
	.protected	fft_rtc_fwd_len96_factors_8_3_4_wgs_256_tpt_32_sp_op_CI_CI_sbcc_twdbase8_2step ; -- Begin function fft_rtc_fwd_len96_factors_8_3_4_wgs_256_tpt_32_sp_op_CI_CI_sbcc_twdbase8_2step
	.globl	fft_rtc_fwd_len96_factors_8_3_4_wgs_256_tpt_32_sp_op_CI_CI_sbcc_twdbase8_2step
	.p2align	8
	.type	fft_rtc_fwd_len96_factors_8_3_4_wgs_256_tpt_32_sp_op_CI_CI_sbcc_twdbase8_2step,@function
fft_rtc_fwd_len96_factors_8_3_4_wgs_256_tpt_32_sp_op_CI_CI_sbcc_twdbase8_2step: ; @fft_rtc_fwd_len96_factors_8_3_4_wgs_256_tpt_32_sp_op_CI_CI_sbcc_twdbase8_2step
; %bb.0:
	s_load_dwordx4 s[0:3], s[4:5], 0x18
	s_load_dwordx2 s[30:31], s[4:5], 0x28
	s_mov_b32 s7, 0
	s_mov_b64 s[24:25], 0
	s_waitcnt lgkmcnt(0)
	s_load_dwordx2 s[28:29], s[0:1], 0x8
	s_waitcnt lgkmcnt(0)
	s_add_u32 s8, s28, -1
	s_addc_u32 s9, s29, -1
	s_lshr_b64 s[8:9], s[8:9], 3
	s_add_u32 s34, s8, 1
	s_addc_u32 s35, s9, 0
	v_mov_b32_e32 v1, s34
	v_mov_b32_e32 v2, s35
	v_cmp_lt_u64_e32 vcc, s[6:7], v[1:2]
	s_cbranch_vccnz .LBB0_2
; %bb.1:
	v_cvt_f32_u32_e32 v1, s34
	s_sub_i32 s8, 0, s34
	s_mov_b32 s25, s7
	v_rcp_iflag_f32_e32 v1, v1
	v_mul_f32_e32 v1, 0x4f7ffffe, v1
	v_cvt_u32_f32_e32 v1, v1
	v_readfirstlane_b32 s9, v1
	s_mul_i32 s8, s8, s9
	s_mul_hi_u32 s8, s9, s8
	s_add_i32 s9, s9, s8
	s_mul_hi_u32 s8, s6, s9
	s_mul_i32 s10, s8, s34
	s_sub_i32 s10, s6, s10
	s_add_i32 s9, s8, 1
	s_sub_i32 s11, s10, s34
	s_cmp_ge_u32 s10, s34
	s_cselect_b32 s8, s9, s8
	s_cselect_b32 s10, s11, s10
	s_add_i32 s9, s8, 1
	s_cmp_ge_u32 s10, s34
	s_cselect_b32 s24, s9, s8
.LBB0_2:
	s_mul_i32 s16, s24, s35
	s_mul_hi_u32 s17, s24, s34
	s_load_dwordx4 s[12:15], s[4:5], 0x60
	s_load_dwordx4 s[20:23], s[2:3], 0x0
	;; [unrolled: 1-line block ×3, first 2 shown]
	s_add_i32 s17, s17, s16
	s_mul_i32 s16, s24, s34
	s_sub_u32 s36, s6, s16
	s_subb_u32 s37, 0, s17
	v_mov_b32_e32 v1, s36
	v_alignbit_b32 v1, s37, v1, 29
	s_waitcnt lgkmcnt(0)
	v_mul_lo_u32 v2, s22, v1
	s_load_dwordx2 s[26:27], s[4:5], 0x0
	s_load_dwordx4 s[16:19], s[4:5], 0x8
	s_lshl_b64 s[4:5], s[36:37], 3
	s_mul_hi_u32 s33, s22, s4
	v_mul_lo_u32 v3, s10, v1
	v_add_u32_e32 v2, s33, v2
	s_mul_i32 s33, s23, s4
	v_add_u32_e32 v2, s33, v2
	s_mul_i32 s33, s22, s4
	v_mov_b32_e32 v1, s33
	s_mul_hi_u32 s33, s10, s4
	v_add_u32_e32 v3, s33, v3
	s_mul_i32 s33, s11, s4
	s_waitcnt lgkmcnt(0)
	v_cmp_lt_u64_e64 s[36:37], s[18:19], 3
	v_add_u32_e32 v10, s33, v3
	s_mul_i32 s33, s10, s4
	v_mov_b32_e32 v9, s33
	s_and_b64 vcc, exec, s[36:37]
	s_cbranch_vccnz .LBB0_11
; %bb.3:
	s_add_u32 s36, s30, 16
	s_addc_u32 s37, s31, 0
	s_add_u32 s38, s2, 16
	s_addc_u32 s39, s3, 0
	s_add_u32 s40, s0, 16
	v_mov_b32_e32 v3, s18
	s_addc_u32 s41, s1, 0
	s_mov_b64 s[42:43], 2
	s_mov_b32 s44, 0
	v_mov_b32_e32 v4, s19
	s_branch .LBB0_5
.LBB0_4:                                ;   in Loop: Header=BB0_5 Depth=1
	s_mul_i32 s33, s46, s35
	s_mul_hi_u32 s35, s46, s34
	s_add_i32 s33, s35, s33
	s_mul_i32 s35, s47, s34
	s_add_i32 s35, s33, s35
	s_mul_i32 s33, s0, s47
	s_mul_hi_u32 s45, s0, s46
	s_load_dwordx2 s[48:49], s[38:39], 0x0
	s_add_i32 s33, s45, s33
	s_mul_i32 s45, s1, s46
	s_add_i32 s33, s33, s45
	s_mul_i32 s45, s0, s46
	s_sub_u32 s45, s24, s45
	s_subb_u32 s33, s25, s33
	s_waitcnt lgkmcnt(0)
	s_mul_i32 s24, s48, s33
	s_mul_hi_u32 s25, s48, s45
	s_add_i32 s24, s25, s24
	s_mul_i32 s25, s49, s45
	s_add_i32 s24, s24, s25
	v_mov_b32_e32 v5, s24
	s_load_dwordx2 s[24:25], s[36:37], 0x0
	s_mul_i32 s34, s46, s34
	s_mul_i32 s46, s48, s45
	v_add_co_u32_e32 v1, vcc, s46, v1
	s_waitcnt lgkmcnt(0)
	s_mul_i32 s33, s24, s33
	s_mul_hi_u32 s46, s24, s45
	s_add_i32 s33, s46, s33
	s_mul_i32 s25, s25, s45
	s_add_i32 s25, s33, s25
	s_add_u32 s42, s42, 1
	s_addc_u32 s43, s43, 0
	v_addc_co_u32_e32 v2, vcc, v5, v2, vcc
	s_mul_i32 s24, s24, s45
	s_add_u32 s36, s36, 8
	v_mov_b32_e32 v5, s25
	v_add_co_u32_e32 v9, vcc, s24, v9
	s_addc_u32 s37, s37, 0
	v_addc_co_u32_e32 v10, vcc, v5, v10, vcc
	s_add_u32 s38, s38, 8
	s_addc_u32 s39, s39, 0
	v_cmp_ge_u64_e32 vcc, s[42:43], v[3:4]
	s_add_u32 s40, s40, 8
	s_addc_u32 s41, s41, 0
	s_mov_b64 s[24:25], s[0:1]
	s_cbranch_vccnz .LBB0_9
.LBB0_5:                                ; =>This Inner Loop Header: Depth=1
	s_load_dwordx2 s[46:47], s[40:41], 0x0
	s_waitcnt lgkmcnt(0)
	s_or_b64 s[0:1], s[24:25], s[46:47]
	s_mov_b32 s45, s1
	s_cmp_lg_u64 s[44:45], 0
	s_cbranch_scc0 .LBB0_7
; %bb.6:                                ;   in Loop: Header=BB0_5 Depth=1
	v_cvt_f32_u32_e32 v5, s46
	v_cvt_f32_u32_e32 v6, s47
	s_sub_u32 s0, 0, s46
	s_subb_u32 s1, 0, s47
	v_mac_f32_e32 v5, 0x4f800000, v6
	v_rcp_f32_e32 v5, v5
	v_mul_f32_e32 v5, 0x5f7ffffc, v5
	v_mul_f32_e32 v6, 0x2f800000, v5
	v_trunc_f32_e32 v6, v6
	v_mac_f32_e32 v5, 0xcf800000, v6
	v_cvt_u32_f32_e32 v6, v6
	v_cvt_u32_f32_e32 v5, v5
	v_readfirstlane_b32 s33, v6
	v_readfirstlane_b32 s45, v5
	s_mul_i32 s48, s0, s33
	s_mul_hi_u32 s50, s0, s45
	s_mul_i32 s49, s1, s45
	s_add_i32 s48, s50, s48
	s_mul_i32 s51, s0, s45
	s_add_i32 s48, s48, s49
	s_mul_hi_u32 s49, s45, s48
	s_mul_i32 s50, s45, s48
	s_mul_hi_u32 s45, s45, s51
	s_add_u32 s45, s45, s50
	s_addc_u32 s49, 0, s49
	s_mul_hi_u32 s52, s33, s51
	s_mul_i32 s51, s33, s51
	s_add_u32 s45, s45, s51
	s_mul_hi_u32 s50, s33, s48
	s_addc_u32 s45, s49, s52
	s_addc_u32 s49, s50, 0
	s_mul_i32 s48, s33, s48
	s_add_u32 s45, s45, s48
	s_addc_u32 s48, 0, s49
	v_add_co_u32_e32 v5, vcc, s45, v5
	s_cmp_lg_u64 vcc, 0
	s_addc_u32 s33, s33, s48
	v_readfirstlane_b32 s48, v5
	s_mul_i32 s45, s0, s33
	s_mul_hi_u32 s49, s0, s48
	s_add_i32 s45, s49, s45
	s_mul_i32 s1, s1, s48
	s_add_i32 s45, s45, s1
	s_mul_i32 s0, s0, s48
	s_mul_hi_u32 s49, s33, s0
	s_mul_i32 s50, s33, s0
	s_mul_i32 s52, s48, s45
	s_mul_hi_u32 s0, s48, s0
	s_mul_hi_u32 s51, s48, s45
	s_add_u32 s0, s0, s52
	s_addc_u32 s48, 0, s51
	s_add_u32 s0, s0, s50
	s_mul_hi_u32 s1, s33, s45
	s_addc_u32 s0, s48, s49
	s_addc_u32 s1, s1, 0
	s_mul_i32 s45, s33, s45
	s_add_u32 s0, s0, s45
	s_addc_u32 s1, 0, s1
	v_add_co_u32_e32 v5, vcc, s0, v5
	s_cmp_lg_u64 vcc, 0
	s_addc_u32 s0, s33, s1
	v_readfirstlane_b32 s45, v5
	s_mul_i32 s33, s24, s0
	s_mul_hi_u32 s48, s24, s45
	s_mul_hi_u32 s1, s24, s0
	s_add_u32 s33, s48, s33
	s_addc_u32 s1, 0, s1
	s_mul_hi_u32 s49, s25, s45
	s_mul_i32 s45, s25, s45
	s_add_u32 s33, s33, s45
	s_mul_hi_u32 s48, s25, s0
	s_addc_u32 s1, s1, s49
	s_addc_u32 s33, s48, 0
	s_mul_i32 s0, s25, s0
	s_add_u32 s45, s1, s0
	s_addc_u32 s33, 0, s33
	s_mul_i32 s0, s46, s33
	s_mul_hi_u32 s1, s46, s45
	s_add_i32 s0, s1, s0
	s_mul_i32 s1, s47, s45
	s_add_i32 s48, s0, s1
	s_mul_i32 s1, s46, s45
	v_mov_b32_e32 v5, s1
	s_sub_i32 s0, s25, s48
	v_sub_co_u32_e32 v5, vcc, s24, v5
	s_cmp_lg_u64 vcc, 0
	s_subb_u32 s49, s0, s47
	v_subrev_co_u32_e64 v6, s[0:1], s46, v5
	s_cmp_lg_u64 s[0:1], 0
	s_subb_u32 s0, s49, 0
	s_cmp_ge_u32 s0, s47
	v_readfirstlane_b32 s49, v6
	s_cselect_b32 s1, -1, 0
	s_cmp_ge_u32 s49, s46
	s_cselect_b32 s49, -1, 0
	s_cmp_eq_u32 s0, s47
	s_cselect_b32 s0, s49, s1
	s_add_u32 s1, s45, 1
	s_addc_u32 s49, s33, 0
	s_add_u32 s50, s45, 2
	s_addc_u32 s51, s33, 0
	s_cmp_lg_u32 s0, 0
	s_cselect_b32 s0, s50, s1
	s_cselect_b32 s1, s51, s49
	s_cmp_lg_u64 vcc, 0
	s_subb_u32 s48, s25, s48
	s_cmp_ge_u32 s48, s47
	v_readfirstlane_b32 s50, v5
	s_cselect_b32 s49, -1, 0
	s_cmp_ge_u32 s50, s46
	s_cselect_b32 s50, -1, 0
	s_cmp_eq_u32 s48, s47
	s_cselect_b32 s48, s50, s49
	s_cmp_lg_u32 s48, 0
	s_cselect_b32 s1, s1, s33
	s_cselect_b32 s0, s0, s45
	s_cbranch_execnz .LBB0_4
	s_branch .LBB0_8
.LBB0_7:                                ;   in Loop: Header=BB0_5 Depth=1
                                        ; implicit-def: $sgpr0_sgpr1
.LBB0_8:                                ;   in Loop: Header=BB0_5 Depth=1
	v_cvt_f32_u32_e32 v5, s46
	s_sub_i32 s0, 0, s46
	v_rcp_iflag_f32_e32 v5, v5
	v_mul_f32_e32 v5, 0x4f7ffffe, v5
	v_cvt_u32_f32_e32 v5, v5
	v_readfirstlane_b32 s1, v5
	s_mul_i32 s0, s0, s1
	s_mul_hi_u32 s0, s1, s0
	s_add_i32 s1, s1, s0
	s_mul_hi_u32 s0, s24, s1
	s_mul_i32 s33, s0, s46
	s_sub_i32 s33, s24, s33
	s_add_i32 s1, s0, 1
	s_sub_i32 s45, s33, s46
	s_cmp_ge_u32 s33, s46
	s_cselect_b32 s0, s1, s0
	s_cselect_b32 s33, s45, s33
	s_add_i32 s1, s0, 1
	s_cmp_ge_u32 s33, s46
	s_cselect_b32 s0, s1, s0
	s_mov_b32 s1, s44
	s_branch .LBB0_4
.LBB0_9:
	v_mov_b32_e32 v3, s34
	v_mov_b32_e32 v4, s35
	v_cmp_lt_u64_e32 vcc, s[6:7], v[3:4]
	s_mov_b64 s[24:25], 0
	s_cbranch_vccnz .LBB0_11
; %bb.10:
	v_cvt_f32_u32_e32 v3, s34
	s_sub_i32 s0, 0, s34
	v_rcp_iflag_f32_e32 v3, v3
	v_mul_f32_e32 v3, 0x4f7ffffe, v3
	v_cvt_u32_f32_e32 v3, v3
	v_readfirstlane_b32 s1, v3
	s_mul_i32 s0, s0, s1
	s_mul_hi_u32 s0, s1, s0
	s_add_i32 s1, s1, s0
	s_mul_hi_u32 s0, s6, s1
	s_mul_i32 s7, s0, s34
	s_sub_i32 s6, s6, s7
	s_add_i32 s1, s0, 1
	s_sub_i32 s7, s6, s34
	s_cmp_ge_u32 s6, s34
	s_cselect_b32 s0, s1, s0
	s_cselect_b32 s6, s7, s6
	s_add_i32 s1, s0, 1
	s_cmp_ge_u32 s6, s34
	s_cselect_b32 s24, s1, s0
.LBB0_11:
	s_lshl_b64 s[34:35], s[18:19], 3
	s_add_u32 s18, s30, s34
	s_addc_u32 s19, s31, s35
	s_add_u32 s0, s4, 8
	v_mov_b32_e32 v3, s28
	s_addc_u32 s1, s5, 0
	v_mov_b32_e32 v4, s29
	v_and_b32_e32 v29, 7, v0
	v_cmp_le_u64_e32 vcc, s[0:1], v[3:4]
	v_or_b32_e32 v3, s4, v29
	v_mov_b32_e32 v4, s5
	v_cmp_gt_u64_e64 s[0:1], s[28:29], v[3:4]
	v_lshrrev_b32_e32 v31, 3, v0
	s_or_b64 s[6:7], vcc, s[0:1]
	v_lshlrev_b32_e32 v30, 3, v31
	v_add_u32_e32 v28, 32, v31
	v_add_u32_e32 v27, 64, v31
	s_and_saveexec_b64 s[0:1], s[6:7]
	s_cbranch_execz .LBB0_13
; %bb.12:
	s_add_u32 s2, s2, s34
	s_addc_u32 s3, s3, s35
	s_load_dwordx2 s[2:3], s[2:3], 0x0
	v_mad_u64_u32 v[3:4], s[28:29], s22, v29, 0
	v_mad_u64_u32 v[5:6], s[28:29], s20, v31, 0
	s_waitcnt lgkmcnt(0)
	s_mul_i32 s3, s3, s24
	s_mul_hi_u32 s5, s2, s24
	v_mad_u64_u32 v[7:8], s[22:23], s23, v29, v[4:5]
	s_add_i32 s3, s5, s3
	s_mul_i32 s2, s2, s24
	s_lshl_b64 s[2:3], s[2:3], 3
	s_add_u32 s2, s12, s2
	v_lshlrev_b64 v[1:2], 3, v[1:2]
	v_mov_b32_e32 v4, v6
	s_addc_u32 s3, s13, s3
	v_mad_u64_u32 v[11:12], s[22:23], s21, v31, v[4:5]
	v_mov_b32_e32 v4, v7
	v_mov_b32_e32 v7, s3
	v_add_co_u32_e32 v8, vcc, s2, v1
	v_addc_co_u32_e32 v7, vcc, v7, v2, vcc
	v_lshlrev_b64 v[1:2], 3, v[3:4]
	v_mad_u64_u32 v[3:4], s[2:3], s20, v28, 0
	v_mov_b32_e32 v6, v11
	v_add_co_u32_e32 v8, vcc, v8, v1
	v_addc_co_u32_e32 v11, vcc, v7, v2, vcc
	v_lshlrev_b64 v[1:2], 3, v[5:6]
	v_mad_u64_u32 v[4:5], s[2:3], s21, v28, v[4:5]
	v_mad_u64_u32 v[5:6], s[2:3], s20, v27, 0
	v_add_co_u32_e32 v1, vcc, v8, v1
	v_mad_u64_u32 v[6:7], s[2:3], s21, v27, v[6:7]
	v_lshlrev_b64 v[3:4], 3, v[3:4]
	v_addc_co_u32_e32 v2, vcc, v11, v2, vcc
	v_add_co_u32_e32 v3, vcc, v8, v3
	v_lshlrev_b64 v[5:6], 3, v[5:6]
	v_addc_co_u32_e32 v4, vcc, v11, v4, vcc
	v_add_co_u32_e32 v5, vcc, v8, v5
	v_addc_co_u32_e32 v6, vcc, v11, v6, vcc
	global_load_dwordx2 v[7:8], v[1:2], off
	global_load_dwordx2 v[11:12], v[3:4], off
	;; [unrolled: 1-line block ×3, first 2 shown]
	v_mul_u32_u24_e32 v1, 0x300, v29
	v_add3_u32 v1, 0, v1, v30
	s_waitcnt vmcnt(1)
	ds_write2_b64 v1, v[7:8], v[11:12] offset1:32
	s_waitcnt vmcnt(0)
	ds_write_b64 v1, v[13:14] offset:512
.LBB0_13:
	s_or_b64 exec, exec, s[0:1]
	v_bfe_u32 v1, v0, 5, 3
	v_and_b32_e32 v15, 31, v0
	v_mul_u32_u24_e32 v1, 0x60, v1
	v_lshlrev_b32_e32 v18, 3, v15
	v_lshlrev_b32_e32 v16, 3, v1
	v_add_u32_e32 v17, 0, v18
	v_add_u32_e32 v32, v17, v16
	s_waitcnt lgkmcnt(0)
	s_barrier
	ds_read2_b64 v[1:4], v32 offset0:12 offset1:24
	ds_read2_b64 v[11:14], v32 offset0:60 offset1:72
	v_add3_u32 v33, 0, v16, v18
	ds_read2_b64 v[5:8], v32 offset0:36 offset1:48
	ds_read_b64 v[24:25], v32 offset:672
	v_cmp_gt_u32_e32 vcc, 12, v15
	s_waitcnt lgkmcnt(2)
	v_sub_f32_e32 v19, v3, v13
	v_sub_f32_e32 v23, v4, v14
	ds_read_b64 v[13:14], v33
	v_sub_f32_e32 v21, v1, v11
	v_sub_f32_e32 v22, v2, v12
	s_waitcnt lgkmcnt(1)
	v_sub_f32_e32 v36, v5, v24
	v_sub_f32_e32 v25, v6, v25
	s_waitcnt lgkmcnt(0)
	v_sub_f32_e32 v18, v13, v7
	v_sub_f32_e32 v26, v14, v8
	;; [unrolled: 1-line block ×3, first 2 shown]
	v_add_f32_e32 v34, v26, v19
	v_sub_f32_e32 v24, v21, v25
	v_mov_b32_e32 v11, v20
	v_mov_b32_e32 v12, v34
	v_add_f32_e32 v35, v22, v36
	v_fmac_f32_e32 v11, 0x3f3504f3, v24
	v_fmac_f32_e32 v12, 0x3f3504f3, v35
	v_fmac_f32_e32 v11, 0xbf3504f3, v35
	v_fmac_f32_e32 v12, 0x3f3504f3, v24
	v_fma_f32 v7, v20, 2.0, -v11
	v_fma_f32 v8, v34, 2.0, -v12
	s_barrier
	s_and_saveexec_b64 s[0:1], vcc
	s_cbranch_execz .LBB0_15
; %bb.14:
	v_fma_f32 v38, v1, 2.0, -v21
	v_fma_f32 v1, v5, 2.0, -v36
	v_sub_f32_e32 v36, v38, v1
	v_fma_f32 v39, v13, 2.0, -v18
	v_fma_f32 v1, v3, 2.0, -v19
	v_sub_f32_e32 v40, v39, v1
	;; [unrolled: 3-line block ×3, first 2 shown]
	v_fma_f32 v1, v26, 2.0, -v34
	v_fma_f32 v5, v21, 2.0, -v24
	;; [unrolled: 1-line block ×3, first 2 shown]
	v_mov_b32_e32 v2, v1
	v_fmac_f32_e32 v2, 0xbf3504f3, v21
	v_fmac_f32_e32 v2, 0x3f3504f3, v5
	v_fma_f32 v18, v18, 2.0, -v20
	v_fma_f32 v6, v1, 2.0, -v2
	v_mov_b32_e32 v1, v18
	v_fma_f32 v37, v14, 2.0, -v26
	v_fma_f32 v4, v4, 2.0, -v23
	v_fmac_f32_e32 v1, 0xbf3504f3, v5
	v_sub_f32_e32 v23, v37, v4
	v_fmac_f32_e32 v1, 0xbf3504f3, v21
	v_fma_f32 v5, v18, 2.0, -v1
	v_fma_f32 v18, v37, 2.0, -v23
	;; [unrolled: 1-line block ×3, first 2 shown]
	v_sub_f32_e32 v19, v18, v19
	v_fma_f32 v21, v18, 2.0, -v19
	v_fma_f32 v20, v39, 2.0, -v40
	;; [unrolled: 1-line block ×3, first 2 shown]
	v_sub_f32_e32 v18, v20, v18
	v_mul_u32_u24_e32 v22, 56, v15
	v_add_f32_e32 v4, v23, v36
	v_sub_f32_e32 v3, v40, v25
	v_fma_f32 v20, v20, 2.0, -v18
	v_add3_u32 v17, v17, v22, v16
	v_fma_f32 v14, v23, 2.0, -v4
	v_fma_f32 v13, v40, 2.0, -v3
	ds_write2_b64 v17, v[20:21], v[5:6] offset1:1
	ds_write2_b64 v17, v[13:14], v[7:8] offset0:2 offset1:3
	ds_write2_b64 v17, v[18:19], v[1:2] offset0:4 offset1:5
	;; [unrolled: 1-line block ×3, first 2 shown]
.LBB0_15:
	s_or_b64 exec, exec, s[0:1]
	v_lshlrev_b32_e32 v1, 4, v29
	s_load_dwordx2 s[2:3], s[18:19], 0x0
	s_waitcnt lgkmcnt(0)
	s_barrier
	global_load_dwordx4 v[11:14], v1, s[26:27]
	ds_read_b64 v[3:4], v33
	ds_read2_b64 v[17:20], v32 offset0:32 offset1:64
	v_lshrrev_b32_e32 v1, 3, v15
	v_mul_u32_u24_e32 v1, 24, v1
	v_or_b32_e32 v1, v1, v29
	v_lshlrev_b32_e32 v1, 3, v1
	v_add3_u32 v16, 0, v1, v16
	v_cmp_gt_u32_e32 vcc, 24, v15
	v_cmp_lt_u32_e64 s[0:1], 23, v15
	s_waitcnt vmcnt(0) lgkmcnt(0)
	s_barrier
	v_mul_f32_e32 v1, v12, v18
	v_mul_f32_e32 v2, v11, v18
	;; [unrolled: 1-line block ×4, first 2 shown]
	v_fma_f32 v1, v11, v17, -v1
	v_fmac_f32_e32 v2, v12, v17
	v_fma_f32 v5, v13, v19, -v5
	v_fmac_f32_e32 v6, v13, v20
	v_add_f32_e32 v12, v1, v5
	v_sub_f32_e32 v13, v2, v6
	v_add_f32_e32 v14, v2, v4
	v_add_f32_e32 v2, v2, v6
	v_add_f32_e32 v11, v1, v3
	v_fma_f32 v3, -0.5, v12, v3
	v_fmac_f32_e32 v4, -0.5, v2
	v_sub_f32_e32 v17, v1, v5
	v_mov_b32_e32 v1, v3
	v_mov_b32_e32 v2, v4
	v_add_f32_e32 v5, v11, v5
	v_add_f32_e32 v6, v14, v6
	v_fmac_f32_e32 v3, 0xbf5db3d7, v13
	v_fmac_f32_e32 v4, 0x3f5db3d7, v17
	;; [unrolled: 1-line block ×4, first 2 shown]
	ds_write_b64 v16, v[3:4] offset:128
	ds_write2_b64 v16, v[5:6], v[1:2] offset1:8
	s_waitcnt lgkmcnt(0)
	s_barrier
	s_and_saveexec_b64 s[12:13], s[0:1]
	s_xor_b64 s[0:1], exec, s[12:13]
	s_or_saveexec_b64 s[0:1], s[0:1]
	v_lshrrev_b32_e32 v0, 5, v0
	s_xor_b64 exec, exec, s[0:1]
	s_cbranch_execz .LBB0_17
; %bb.16:
	ds_read2_b64 v[1:4], v32 offset0:24 offset1:48
	ds_read_b64 v[5:6], v33
	ds_read_b64 v[7:8], v32 offset:576
.LBB0_17:
	s_or_b64 exec, exec, s[0:1]
	v_add_u32_e32 v11, s4, v0
	v_subrev_u32_e32 v0, 24, v15
	v_cndmask_b32_e32 v0, v0, v15, vcc
	v_mul_lo_u32 v12, v11, v0
	v_mov_b32_e32 v19, 3
	v_add_u32_e32 v13, 24, v0
	v_mul_lo_u32 v13, v11, v13
	v_lshlrev_b32_sdwa v20, v19, v12 dst_sel:DWORD dst_unused:UNUSED_PAD src0_sel:DWORD src1_sel:BYTE_0
	v_lshlrev_b32_sdwa v21, v19, v12 dst_sel:DWORD dst_unused:UNUSED_PAD src0_sel:DWORD src1_sel:BYTE_1
	v_add_u32_e32 v12, 48, v0
	v_mul_lo_u32 v24, v11, v12
	v_add_u32_e32 v12, 0x48, v0
	v_mul_lo_u32 v25, v11, v12
	v_lshlrev_b32_sdwa v22, v19, v13 dst_sel:DWORD dst_unused:UNUSED_PAD src0_sel:DWORD src1_sel:BYTE_0
	v_lshlrev_b32_sdwa v23, v19, v13 dst_sel:DWORD dst_unused:UNUSED_PAD src0_sel:DWORD src1_sel:BYTE_1
	v_lshlrev_b32_sdwa v34, v19, v24 dst_sel:DWORD dst_unused:UNUSED_PAD src0_sel:DWORD src1_sel:BYTE_0
	global_load_dwordx2 v[11:12], v20, s[16:17]
	global_load_dwordx2 v[13:14], v21, s[16:17] offset:2048
	global_load_dwordx2 v[15:16], v22, s[16:17]
	global_load_dwordx2 v[17:18], v23, s[16:17] offset:2048
	v_lshlrev_b32_sdwa v35, v19, v24 dst_sel:DWORD dst_unused:UNUSED_PAD src0_sel:DWORD src1_sel:BYTE_1
	v_lshlrev_b32_sdwa v36, v19, v25 dst_sel:DWORD dst_unused:UNUSED_PAD src0_sel:DWORD src1_sel:BYTE_0
	v_lshlrev_b32_sdwa v37, v19, v25 dst_sel:DWORD dst_unused:UNUSED_PAD src0_sel:DWORD src1_sel:BYTE_1
	global_load_dwordx2 v[19:20], v34, s[16:17]
	global_load_dwordx2 v[21:22], v35, s[16:17] offset:2048
	global_load_dwordx2 v[23:24], v36, s[16:17]
	global_load_dwordx2 v[25:26], v37, s[16:17] offset:2048
	s_waitcnt vmcnt(0) lgkmcnt(0)
	s_barrier
	s_and_saveexec_b64 s[0:1], vcc
	s_cbranch_execz .LBB0_19
; %bb.18:
	v_mul_i32_i24_e32 v34, 3, v0
	v_mov_b32_e32 v35, 0
	v_lshlrev_b64 v[34:35], 3, v[34:35]
	v_mov_b32_e32 v0, s27
	v_add_co_u32_e32 v38, vcc, s26, v34
	v_addc_co_u32_e32 v39, vcc, v0, v35, vcc
	global_load_dwordx4 v[34:37], v[38:39], off offset:128
	global_load_dwordx2 v[40:41], v[38:39], off offset:144
	v_mul_f32_e32 v0, v24, v26
	v_mul_f32_e32 v26, v23, v26
	;; [unrolled: 1-line block ×4, first 2 shown]
	v_fma_f32 v0, v23, v25, -v0
	v_fmac_f32_e32 v26, v24, v25
	v_mul_f32_e32 v23, v16, v18
	v_mul_f32_e32 v18, v15, v18
	;; [unrolled: 1-line block ×4, first 2 shown]
	v_fma_f32 v19, v19, v21, -v38
	v_fmac_f32_e32 v22, v20, v21
	v_fma_f32 v15, v15, v17, -v23
	v_fmac_f32_e32 v18, v16, v17
	;; [unrolled: 2-line block ×3, first 2 shown]
	s_waitcnt vmcnt(1)
	v_mul_f32_e32 v12, v2, v35
	s_waitcnt vmcnt(0)
	v_mul_f32_e32 v13, v8, v41
	v_mul_f32_e32 v16, v3, v37
	;; [unrolled: 1-line block ×5, first 2 shown]
	v_fma_f32 v1, v1, v34, -v12
	v_fmac_f32_e32 v16, v4, v36
	v_fma_f32 v3, v3, v36, -v17
	v_fmac_f32_e32 v20, v2, v34
	v_fma_f32 v2, v7, v40, -v13
	v_fmac_f32_e32 v21, v8, v40
	v_sub_f32_e32 v2, v1, v2
	v_sub_f32_e32 v4, v6, v16
	v_sub_f32_e32 v3, v5, v3
	v_sub_f32_e32 v7, v20, v21
	v_add_f32_e32 v8, v4, v2
	v_sub_f32_e32 v12, v3, v7
	v_fma_f32 v6, v6, 2.0, -v4
	v_fma_f32 v7, v20, 2.0, -v7
	;; [unrolled: 1-line block ×4, first 2 shown]
	v_mul_f32_e32 v1, v12, v26
	v_mul_f32_e32 v5, v8, v26
	v_sub_f32_e32 v7, v6, v7
	v_sub_f32_e32 v2, v13, v2
	v_fma_f32 v4, v4, 2.0, -v8
	v_fma_f32 v16, v3, 2.0, -v12
	v_fmac_f32_e32 v1, v8, v0
	v_fma_f32 v0, v12, v0, -v5
	v_mul_f32_e32 v3, v2, v22
	v_mul_f32_e32 v8, v7, v22
	;; [unrolled: 1-line block ×4, first 2 shown]
	v_fma_f32 v6, v6, 2.0, -v7
	v_fma_f32 v13, v13, 2.0, -v2
	v_fmac_f32_e32 v3, v7, v19
	v_fma_f32 v2, v2, v19, -v8
	v_fmac_f32_e32 v5, v4, v15
	v_fma_f32 v4, v16, v15, -v12
	v_mul_f32_e32 v7, v13, v14
	v_mul_f32_e32 v8, v6, v14
	v_fmac_f32_e32 v7, v6, v11
	v_fma_f32 v6, v13, v11, -v8
	ds_write2_b64 v32, v[4:5], v[2:3] offset0:24 offset1:48
	ds_write_b64 v33, v[6:7]
	ds_write_b64 v32, v[0:1] offset:576
.LBB0_19:
	s_or_b64 exec, exec, s[0:1]
	s_waitcnt lgkmcnt(0)
	s_barrier
	s_and_saveexec_b64 s[0:1], s[6:7]
	s_cbranch_execz .LBB0_21
; %bb.20:
	v_mad_u64_u32 v[4:5], s[0:1], s10, v29, 0
	v_mad_u64_u32 v[6:7], s[0:1], s8, v31, 0
	v_mov_b32_e32 v0, v5
	v_mad_u64_u32 v[0:1], s[0:1], s11, v29, v[0:1]
	v_mov_b32_e32 v1, v7
	s_mul_i32 s3, s3, s24
	s_mul_hi_u32 s4, s2, s24
	v_mad_u64_u32 v[1:2], s[0:1], s9, v31, v[1:2]
	s_add_i32 s1, s4, s3
	s_mul_i32 s0, s2, s24
	s_lshl_b64 s[0:1], s[0:1], 3
	s_add_u32 s0, s14, s0
	v_lshlrev_b64 v[8:9], 3, v[9:10]
	v_mov_b32_e32 v5, v0
	s_addc_u32 s1, s15, s1
	v_mov_b32_e32 v10, s1
	v_add_co_u32_e32 v8, vcc, s0, v8
	v_lshlrev_b64 v[4:5], 3, v[4:5]
	v_addc_co_u32_e32 v9, vcc, v10, v9, vcc
	v_mov_b32_e32 v7, v1
	v_add_co_u32_e32 v10, vcc, v8, v4
	v_addc_co_u32_e32 v12, vcc, v9, v5, vcc
	v_lshlrev_b64 v[4:5], 3, v[6:7]
	v_mad_u64_u32 v[6:7], s[0:1], s8, v28, 0
	v_mul_u32_u24_e32 v0, 0x300, v29
	v_add3_u32 v11, 0, v0, v30
	ds_read2_b64 v[0:3], v11 offset1:32
	v_mad_u64_u32 v[7:8], s[0:1], s9, v28, v[7:8]
	v_mad_u64_u32 v[8:9], s[0:1], s8, v27, 0
	v_add_co_u32_e32 v4, vcc, v10, v4
	v_addc_co_u32_e32 v5, vcc, v12, v5, vcc
	s_waitcnt lgkmcnt(0)
	global_store_dwordx2 v[4:5], v[0:1], off
	v_mov_b32_e32 v4, v9
	v_lshlrev_b64 v[0:1], 3, v[6:7]
	v_mad_u64_u32 v[4:5], s[0:1], s9, v27, v[4:5]
	v_add_co_u32_e32 v0, vcc, v10, v0
	v_addc_co_u32_e32 v1, vcc, v12, v1, vcc
	global_store_dwordx2 v[0:1], v[2:3], off
	v_mov_b32_e32 v9, v4
	ds_read_b64 v[0:1], v11 offset:512
	v_lshlrev_b64 v[2:3], 3, v[8:9]
	v_add_co_u32_e32 v2, vcc, v10, v2
	v_addc_co_u32_e32 v3, vcc, v12, v3, vcc
	s_waitcnt lgkmcnt(0)
	global_store_dwordx2 v[2:3], v[0:1], off
.LBB0_21:
	s_endpgm
	.section	.rodata,"a",@progbits
	.p2align	6, 0x0
	.amdhsa_kernel fft_rtc_fwd_len96_factors_8_3_4_wgs_256_tpt_32_sp_op_CI_CI_sbcc_twdbase8_2step
		.amdhsa_group_segment_fixed_size 0
		.amdhsa_private_segment_fixed_size 0
		.amdhsa_kernarg_size 112
		.amdhsa_user_sgpr_count 6
		.amdhsa_user_sgpr_private_segment_buffer 1
		.amdhsa_user_sgpr_dispatch_ptr 0
		.amdhsa_user_sgpr_queue_ptr 0
		.amdhsa_user_sgpr_kernarg_segment_ptr 1
		.amdhsa_user_sgpr_dispatch_id 0
		.amdhsa_user_sgpr_flat_scratch_init 0
		.amdhsa_user_sgpr_private_segment_size 0
		.amdhsa_uses_dynamic_stack 0
		.amdhsa_system_sgpr_private_segment_wavefront_offset 0
		.amdhsa_system_sgpr_workgroup_id_x 1
		.amdhsa_system_sgpr_workgroup_id_y 0
		.amdhsa_system_sgpr_workgroup_id_z 0
		.amdhsa_system_sgpr_workgroup_info 0
		.amdhsa_system_vgpr_workitem_id 0
		.amdhsa_next_free_vgpr 42
		.amdhsa_next_free_sgpr 53
		.amdhsa_reserve_vcc 1
		.amdhsa_reserve_flat_scratch 0
		.amdhsa_float_round_mode_32 0
		.amdhsa_float_round_mode_16_64 0
		.amdhsa_float_denorm_mode_32 3
		.amdhsa_float_denorm_mode_16_64 3
		.amdhsa_dx10_clamp 1
		.amdhsa_ieee_mode 1
		.amdhsa_fp16_overflow 0
		.amdhsa_exception_fp_ieee_invalid_op 0
		.amdhsa_exception_fp_denorm_src 0
		.amdhsa_exception_fp_ieee_div_zero 0
		.amdhsa_exception_fp_ieee_overflow 0
		.amdhsa_exception_fp_ieee_underflow 0
		.amdhsa_exception_fp_ieee_inexact 0
		.amdhsa_exception_int_div_zero 0
	.end_amdhsa_kernel
	.text
.Lfunc_end0:
	.size	fft_rtc_fwd_len96_factors_8_3_4_wgs_256_tpt_32_sp_op_CI_CI_sbcc_twdbase8_2step, .Lfunc_end0-fft_rtc_fwd_len96_factors_8_3_4_wgs_256_tpt_32_sp_op_CI_CI_sbcc_twdbase8_2step
                                        ; -- End function
	.section	.AMDGPU.csdata,"",@progbits
; Kernel info:
; codeLenInByte = 3340
; NumSgprs: 57
; NumVgprs: 42
; ScratchSize: 0
; MemoryBound: 0
; FloatMode: 240
; IeeeMode: 1
; LDSByteSize: 0 bytes/workgroup (compile time only)
; SGPRBlocks: 7
; VGPRBlocks: 10
; NumSGPRsForWavesPerEU: 57
; NumVGPRsForWavesPerEU: 42
; Occupancy: 5
; WaveLimiterHint : 1
; COMPUTE_PGM_RSRC2:SCRATCH_EN: 0
; COMPUTE_PGM_RSRC2:USER_SGPR: 6
; COMPUTE_PGM_RSRC2:TRAP_HANDLER: 0
; COMPUTE_PGM_RSRC2:TGID_X_EN: 1
; COMPUTE_PGM_RSRC2:TGID_Y_EN: 0
; COMPUTE_PGM_RSRC2:TGID_Z_EN: 0
; COMPUTE_PGM_RSRC2:TIDIG_COMP_CNT: 0
	.type	__hip_cuid_c66c1aa587011fb4,@object ; @__hip_cuid_c66c1aa587011fb4
	.section	.bss,"aw",@nobits
	.globl	__hip_cuid_c66c1aa587011fb4
__hip_cuid_c66c1aa587011fb4:
	.byte	0                               ; 0x0
	.size	__hip_cuid_c66c1aa587011fb4, 1

	.ident	"AMD clang version 19.0.0git (https://github.com/RadeonOpenCompute/llvm-project roc-6.4.0 25133 c7fe45cf4b819c5991fe208aaa96edf142730f1d)"
	.section	".note.GNU-stack","",@progbits
	.addrsig
	.addrsig_sym __hip_cuid_c66c1aa587011fb4
	.amdgpu_metadata
---
amdhsa.kernels:
  - .args:
      - .actual_access:  read_only
        .address_space:  global
        .offset:         0
        .size:           8
        .value_kind:     global_buffer
      - .address_space:  global
        .offset:         8
        .size:           8
        .value_kind:     global_buffer
      - .offset:         16
        .size:           8
        .value_kind:     by_value
      - .actual_access:  read_only
        .address_space:  global
        .offset:         24
        .size:           8
        .value_kind:     global_buffer
      - .actual_access:  read_only
        .address_space:  global
        .offset:         32
        .size:           8
        .value_kind:     global_buffer
      - .actual_access:  read_only
        .address_space:  global
        .offset:         40
        .size:           8
        .value_kind:     global_buffer
      - .offset:         48
        .size:           8
        .value_kind:     by_value
      - .actual_access:  read_only
        .address_space:  global
        .offset:         56
        .size:           8
        .value_kind:     global_buffer
      - .actual_access:  read_only
        .address_space:  global
        .offset:         64
        .size:           8
        .value_kind:     global_buffer
      - .offset:         72
        .size:           4
        .value_kind:     by_value
      - .actual_access:  read_only
        .address_space:  global
        .offset:         80
        .size:           8
        .value_kind:     global_buffer
      - .actual_access:  read_only
        .address_space:  global
        .offset:         88
        .size:           8
        .value_kind:     global_buffer
      - .actual_access:  read_only
        .address_space:  global
        .offset:         96
        .size:           8
        .value_kind:     global_buffer
      - .actual_access:  write_only
        .address_space:  global
        .offset:         104
        .size:           8
        .value_kind:     global_buffer
    .group_segment_fixed_size: 0
    .kernarg_segment_align: 8
    .kernarg_segment_size: 112
    .language:       OpenCL C
    .language_version:
      - 2
      - 0
    .max_flat_workgroup_size: 256
    .name:           fft_rtc_fwd_len96_factors_8_3_4_wgs_256_tpt_32_sp_op_CI_CI_sbcc_twdbase8_2step
    .private_segment_fixed_size: 0
    .sgpr_count:     57
    .sgpr_spill_count: 0
    .symbol:         fft_rtc_fwd_len96_factors_8_3_4_wgs_256_tpt_32_sp_op_CI_CI_sbcc_twdbase8_2step.kd
    .uniform_work_group_size: 1
    .uses_dynamic_stack: false
    .vgpr_count:     42
    .vgpr_spill_count: 0
    .wavefront_size: 64
amdhsa.target:   amdgcn-amd-amdhsa--gfx906
amdhsa.version:
  - 1
  - 2
...

	.end_amdgpu_metadata
